;; amdgpu-corpus repo=ROCm/rocFFT kind=compiled arch=gfx1030 opt=O3
	.text
	.amdgcn_target "amdgcn-amd-amdhsa--gfx1030"
	.amdhsa_code_object_version 6
	.protected	fft_rtc_back_len128_factors_16_8_wgs_256_tpt_16_half_ip_CI_sbcc_twdbase5_3step_dirReg ; -- Begin function fft_rtc_back_len128_factors_16_8_wgs_256_tpt_16_half_ip_CI_sbcc_twdbase5_3step_dirReg
	.globl	fft_rtc_back_len128_factors_16_8_wgs_256_tpt_16_half_ip_CI_sbcc_twdbase5_3step_dirReg
	.p2align	8
	.type	fft_rtc_back_len128_factors_16_8_wgs_256_tpt_16_half_ip_CI_sbcc_twdbase5_3step_dirReg,@function
fft_rtc_back_len128_factors_16_8_wgs_256_tpt_16_half_ip_CI_sbcc_twdbase5_3step_dirReg: ; @fft_rtc_back_len128_factors_16_8_wgs_256_tpt_16_half_ip_CI_sbcc_twdbase5_3step_dirReg
; %bb.0:
	s_load_dwordx8 s[8:15], s[4:5], 0x8
	s_mov_b32 s0, exec_lo
	v_cmpx_gt_u32_e32 0x60, v0
	s_cbranch_execz .LBB0_2
; %bb.1:
	v_lshlrev_b32_e32 v1, 2, v0
	s_waitcnt lgkmcnt(0)
	global_load_dword v2, v1, s[8:9]
	v_add_nc_u32_e32 v1, 0, v1
	s_waitcnt vmcnt(0)
	ds_write_b32 v1, v2 offset:8192
.LBB0_2:
	s_or_b32 exec_lo, exec_lo, s0
	s_waitcnt lgkmcnt(0)
	s_load_dwordx2 s[8:9], s[12:13], 0x8
	s_mov_b32 s7, 0
	s_mov_b64 s[22:23], 0
	s_waitcnt lgkmcnt(0)
	s_add_u32 s0, s8, -1
	s_addc_u32 s1, s9, -1
	s_lshr_b64 s[0:1], s[0:1], 4
	s_add_u32 s0, s0, 1
	s_addc_u32 s1, s1, 0
	v_cmp_lt_u64_e64 s2, s[6:7], s[0:1]
	s_and_b32 vcc_lo, exec_lo, s2
	s_cbranch_vccnz .LBB0_4
; %bb.3:
	v_cvt_f32_u32_e32 v1, s0
	s_sub_i32 s3, 0, s0
	s_mov_b32 s23, s7
	v_rcp_iflag_f32_e32 v1, v1
	v_mul_f32_e32 v1, 0x4f7ffffe, v1
	v_cvt_u32_f32_e32 v1, v1
	v_readfirstlane_b32 s2, v1
	s_mul_i32 s3, s3, s2
	s_mul_hi_u32 s3, s2, s3
	s_add_i32 s2, s2, s3
	s_mul_hi_u32 s2, s6, s2
	s_mul_i32 s3, s2, s0
	s_add_i32 s16, s2, 1
	s_sub_i32 s3, s6, s3
	s_sub_i32 s17, s3, s0
	s_cmp_ge_u32 s3, s0
	s_cselect_b32 s2, s16, s2
	s_cselect_b32 s3, s17, s3
	s_add_i32 s16, s2, 1
	s_cmp_ge_u32 s3, s0
	s_cselect_b32 s22, s16, s2
.LBB0_4:
	s_load_dwordx4 s[16:19], s[14:15], 0x0
	s_mul_i32 s2, s22, s1
	s_mul_hi_u32 s3, s22, s0
	s_mul_i32 s20, s22, s0
	s_add_i32 s3, s3, s2
	s_sub_u32 s20, s6, s20
	s_subb_u32 s21, 0, s3
	s_clause 0x1
	s_load_dwordx2 s[2:3], s[4:5], 0x58
	s_load_dwordx2 s[4:5], s[4:5], 0x0
	v_alignbit_b32 v1, s21, s20, 28
	s_lshl_b64 s[20:21], s[20:21], 4
	v_cmp_lt_u64_e64 s25, s[10:11], 3
	s_and_b32 vcc_lo, exec_lo, s25
	s_waitcnt lgkmcnt(0)
	v_mul_lo_u32 v1, s18, v1
	s_mul_hi_u32 s24, s18, s20
	s_mul_i32 s26, s19, s20
	v_add_nc_u32_e32 v2, s24, v1
	s_mul_i32 s24, s18, s20
	v_mov_b32_e32 v1, s24
	v_add_nc_u32_e32 v7, s26, v2
	s_cbranch_vccnz .LBB0_13
; %bb.5:
	s_add_u32 s24, s14, 16
	s_addc_u32 s25, s15, 0
	s_add_u32 s12, s12, 16
	s_addc_u32 s13, s13, 0
	s_mov_b64 s[26:27], 2
	s_mov_b32 s28, 0
	s_branch .LBB0_7
.LBB0_6:                                ;   in Loop: Header=BB0_7 Depth=1
	s_load_dwordx2 s[36:37], s[24:25], 0x0
	s_mul_i32 s1, s30, s1
	s_mul_hi_u32 s29, s30, s0
	s_mul_i32 s33, s31, s0
	s_mul_i32 s31, s34, s31
	s_mul_hi_u32 s38, s34, s30
	s_mul_i32 s39, s35, s30
	s_add_i32 s1, s29, s1
	s_add_i32 s29, s38, s31
	s_mul_i32 s40, s34, s30
	s_add_i32 s1, s1, s33
	s_add_i32 s29, s29, s39
	s_sub_u32 s22, s22, s40
	s_subb_u32 s23, s23, s29
	s_mul_i32 s0, s30, s0
	s_waitcnt lgkmcnt(0)
	s_mul_i32 s23, s36, s23
	s_mul_hi_u32 s29, s36, s22
	s_mul_i32 s31, s37, s22
	s_add_i32 s23, s29, s23
	s_mul_i32 s22, s36, s22
	s_add_i32 s23, s23, s31
	s_add_u32 s26, s26, 1
	s_addc_u32 s27, s27, 0
	v_add_co_u32 v1, vcc_lo, s22, v1
	v_cmp_ge_u64_e64 s29, s[26:27], s[10:11]
	v_add_co_ci_u32_e32 v7, vcc_lo, s23, v7, vcc_lo
	s_add_u32 s24, s24, 8
	s_addc_u32 s25, s25, 0
	s_add_u32 s12, s12, 8
	s_addc_u32 s13, s13, 0
	s_and_b32 vcc_lo, exec_lo, s29
	s_mov_b64 s[22:23], s[34:35]
	s_cbranch_vccnz .LBB0_11
.LBB0_7:                                ; =>This Inner Loop Header: Depth=1
	s_load_dwordx2 s[30:31], s[12:13], 0x0
	s_waitcnt lgkmcnt(0)
	s_or_b64 s[34:35], s[22:23], s[30:31]
	s_mov_b32 s29, s35
                                        ; implicit-def: $sgpr34_sgpr35
	s_cmp_lg_u64 s[28:29], 0
	s_mov_b32 s29, -1
	s_cbranch_scc0 .LBB0_9
; %bb.8:                                ;   in Loop: Header=BB0_7 Depth=1
	v_cvt_f32_u32_e32 v2, s30
	v_cvt_f32_u32_e32 v3, s31
	s_sub_u32 s34, 0, s30
	s_subb_u32 s35, 0, s31
	v_fmac_f32_e32 v2, 0x4f800000, v3
	v_rcp_f32_e32 v2, v2
	v_mul_f32_e32 v2, 0x5f7ffffc, v2
	v_mul_f32_e32 v3, 0x2f800000, v2
	v_trunc_f32_e32 v3, v3
	v_fmac_f32_e32 v2, 0xcf800000, v3
	v_cvt_u32_f32_e32 v3, v3
	v_cvt_u32_f32_e32 v2, v2
	v_readfirstlane_b32 s29, v3
	v_readfirstlane_b32 s33, v2
	s_mul_i32 s36, s34, s29
	s_mul_hi_u32 s38, s34, s33
	s_mul_i32 s37, s35, s33
	s_add_i32 s36, s38, s36
	s_mul_i32 s39, s34, s33
	s_add_i32 s36, s36, s37
	s_mul_hi_u32 s38, s33, s39
	s_mul_hi_u32 s40, s29, s39
	s_mul_i32 s37, s29, s39
	s_mul_hi_u32 s39, s33, s36
	s_mul_i32 s33, s33, s36
	s_mul_hi_u32 s41, s29, s36
	s_add_u32 s33, s38, s33
	s_addc_u32 s38, 0, s39
	s_add_u32 s33, s33, s37
	s_mul_i32 s36, s29, s36
	s_addc_u32 s33, s38, s40
	s_addc_u32 s37, s41, 0
	s_add_u32 s33, s33, s36
	s_addc_u32 s36, 0, s37
	v_add_co_u32 v2, s33, v2, s33
	s_cmp_lg_u32 s33, 0
	s_addc_u32 s29, s29, s36
	v_readfirstlane_b32 s33, v2
	s_mul_i32 s36, s34, s29
	s_mul_hi_u32 s37, s34, s33
	s_mul_i32 s35, s35, s33
	s_add_i32 s36, s37, s36
	s_mul_i32 s34, s34, s33
	s_add_i32 s36, s36, s35
	s_mul_hi_u32 s37, s29, s34
	s_mul_i32 s38, s29, s34
	s_mul_hi_u32 s34, s33, s34
	s_mul_hi_u32 s39, s33, s36
	s_mul_i32 s33, s33, s36
	s_mul_hi_u32 s35, s29, s36
	s_add_u32 s33, s34, s33
	s_addc_u32 s34, 0, s39
	s_add_u32 s33, s33, s38
	s_mul_i32 s36, s29, s36
	s_addc_u32 s33, s34, s37
	s_addc_u32 s34, s35, 0
	s_add_u32 s33, s33, s36
	s_addc_u32 s34, 0, s34
	v_add_co_u32 v2, s33, v2, s33
	s_cmp_lg_u32 s33, 0
	s_addc_u32 s29, s29, s34
	v_readfirstlane_b32 s33, v2
	s_mul_i32 s35, s22, s29
	s_mul_hi_u32 s34, s22, s29
	s_mul_hi_u32 s36, s23, s29
	s_mul_i32 s29, s23, s29
	s_mul_hi_u32 s37, s22, s33
	s_mul_hi_u32 s38, s23, s33
	s_mul_i32 s33, s23, s33
	s_add_u32 s35, s37, s35
	s_addc_u32 s34, 0, s34
	s_add_u32 s33, s35, s33
	s_addc_u32 s33, s34, s38
	s_addc_u32 s34, s36, 0
	s_add_u32 s33, s33, s29
	s_addc_u32 s34, 0, s34
	s_mul_hi_u32 s29, s30, s33
	s_mul_i32 s36, s30, s34
	s_mul_i32 s37, s30, s33
	s_add_i32 s29, s29, s36
	v_sub_co_u32 v2, s36, s22, s37
	s_mul_i32 s35, s31, s33
	s_add_i32 s29, s29, s35
	v_sub_co_u32 v3, s37, v2, s30
	s_sub_i32 s35, s23, s29
	s_cmp_lg_u32 s36, 0
	s_subb_u32 s35, s35, s31
	s_cmp_lg_u32 s37, 0
	v_readfirstlane_b32 s37, v3
	s_subb_u32 s35, s35, 0
	s_cmp_ge_u32 s35, s31
	s_cselect_b32 s38, -1, 0
	s_cmp_ge_u32 s37, s30
	s_cselect_b32 s37, -1, 0
	s_cmp_eq_u32 s35, s31
	s_cselect_b32 s35, s37, s38
	s_add_u32 s37, s33, 1
	s_addc_u32 s38, s34, 0
	s_add_u32 s39, s33, 2
	s_addc_u32 s40, s34, 0
	s_cmp_lg_u32 s35, 0
	s_cselect_b32 s37, s39, s37
	s_cselect_b32 s35, s40, s38
	s_cmp_lg_u32 s36, 0
	v_readfirstlane_b32 s36, v2
	s_subb_u32 s29, s23, s29
	s_cmp_ge_u32 s29, s31
	s_cselect_b32 s38, -1, 0
	s_cmp_ge_u32 s36, s30
	s_cselect_b32 s36, -1, 0
	s_cmp_eq_u32 s29, s31
	s_cselect_b32 s29, s36, s38
	s_cmp_lg_u32 s29, 0
	s_mov_b32 s29, 0
	s_cselect_b32 s35, s35, s34
	s_cselect_b32 s34, s37, s33
.LBB0_9:                                ;   in Loop: Header=BB0_7 Depth=1
	s_andn2_b32 vcc_lo, exec_lo, s29
	s_cbranch_vccnz .LBB0_6
; %bb.10:                               ;   in Loop: Header=BB0_7 Depth=1
	v_cvt_f32_u32_e32 v2, s30
	s_sub_i32 s33, 0, s30
	v_rcp_iflag_f32_e32 v2, v2
	v_mul_f32_e32 v2, 0x4f7ffffe, v2
	v_cvt_u32_f32_e32 v2, v2
	v_readfirstlane_b32 s29, v2
	s_mul_i32 s33, s33, s29
	s_mul_hi_u32 s33, s29, s33
	s_add_i32 s29, s29, s33
	s_mul_hi_u32 s29, s22, s29
	s_mul_i32 s33, s29, s30
	s_add_i32 s34, s29, 1
	s_sub_i32 s33, s22, s33
	s_sub_i32 s35, s33, s30
	s_cmp_ge_u32 s33, s30
	s_cselect_b32 s29, s34, s29
	s_cselect_b32 s33, s35, s33
	s_add_i32 s34, s29, 1
	s_cmp_ge_u32 s33, s30
	s_mov_b32 s35, s28
	s_cselect_b32 s34, s34, s29
	s_branch .LBB0_6
.LBB0_11:
	v_cmp_lt_u64_e64 s1, s[6:7], s[0:1]
	s_mov_b64 s[22:23], 0
	s_and_b32 vcc_lo, exec_lo, s1
	s_cbranch_vccnz .LBB0_13
; %bb.12:
	v_cvt_f32_u32_e32 v2, s0
	s_sub_i32 s7, 0, s0
	v_rcp_iflag_f32_e32 v2, v2
	v_mul_f32_e32 v2, 0x4f7ffffe, v2
	v_cvt_u32_f32_e32 v2, v2
	v_readfirstlane_b32 s1, v2
	s_mul_i32 s7, s7, s1
	s_mul_hi_u32 s7, s1, s7
	s_add_i32 s1, s1, s7
	s_mul_hi_u32 s1, s6, s1
	s_mul_i32 s7, s1, s0
	s_sub_i32 s6, s6, s7
	s_add_i32 s7, s1, 1
	s_sub_i32 s12, s6, s0
	s_cmp_ge_u32 s6, s0
	s_cselect_b32 s1, s7, s1
	s_cselect_b32 s6, s12, s6
	s_add_i32 s7, s1, 1
	s_cmp_ge_u32 s6, s0
	s_cselect_b32 s22, s7, s1
.LBB0_13:
	s_lshl_b64 s[0:1], s[10:11], 3
	v_lshrrev_b32_e32 v17, 4, v0
	s_add_u32 s0, s14, s0
	s_addc_u32 s1, s15, s1
	v_cmp_gt_u32_e32 vcc_lo, 0x80, v0
	s_load_dwordx2 s[0:1], s[0:1], 0x0
	v_and_b32_e32 v18, 15, v0
	v_or_b32_e32 v20, 8, v17
	v_or_b32_e32 v19, 16, v17
	v_or_b32_e32 v6, 24, v17
	v_or_b32_e32 v14, 32, v17
	v_or_b32_e32 v5, 40, v17
	v_or_b32_e32 v15, 48, v17
	v_or_b32_e32 v4, 56, v17
	v_or_b32_e32 v16, 64, v17
	v_or_b32_e32 v3, 0x48, v17
	v_or_b32_e32 v13, 0x50, v17
	v_or_b32_e32 v2, 0x58, v17
	v_or_b32_e32 v12, 0x60, v17
	v_or_b32_e32 v11, 0x70, v17
	v_or_b32_e32 v0, 0x78, v17
                                        ; implicit-def: $vgpr21
                                        ; implicit-def: $vgpr30
                                        ; implicit-def: $vgpr22
                                        ; implicit-def: $vgpr31
                                        ; implicit-def: $vgpr23
                                        ; implicit-def: $vgpr32
                                        ; implicit-def: $vgpr24
                                        ; implicit-def: $vgpr29
                                        ; implicit-def: $vgpr25
                                        ; implicit-def: $vgpr33
                                        ; implicit-def: $vgpr26
                                        ; implicit-def: $vgpr34
                                        ; implicit-def: $vgpr27
                                        ; implicit-def: $vgpr35
                                        ; implicit-def: $vgpr28
                                        ; implicit-def: $vgpr36
	s_waitcnt lgkmcnt(0)
	s_mul_i32 s1, s1, s22
	s_mul_hi_u32 s6, s0, s22
	s_mul_i32 s0, s0, s22
	s_add_i32 s6, s6, s1
	v_add_co_u32 v8, s0, s0, v1
	v_add_co_ci_u32_e64 v9, s0, s6, v7, s0
	s_add_u32 s0, s20, 16
	s_addc_u32 s1, s21, 0
	v_or_b32_e32 v1, 0x68, v17
	v_cmp_le_u64_e64 s6, s[0:1], s[8:9]
	v_lshlrev_b64 v[7:8], 2, v[8:9]
	s_and_b32 s0, vcc_lo, s6
	s_and_saveexec_b32 s1, s0
	s_cbranch_execz .LBB0_15
; %bb.14:
	v_mad_u64_u32 v[9:10], null, s18, v18, 0
	v_mad_u64_u32 v[21:22], null, s16, v17, 0
	;; [unrolled: 1-line block ×3, first 2 shown]
	v_add_co_u32 v33, s0, s2, v7
	v_mad_u64_u32 v[25:26], null, s19, v18, v[10:11]
	v_mad_u64_u32 v[26:27], null, s16, v19, 0
	;; [unrolled: 1-line block ×3, first 2 shown]
	v_add_co_ci_u32_e64 v34, s0, s3, v8, s0
	v_mov_b32_e32 v10, v25
	v_mad_u64_u32 v[29:30], null, s16, v6, 0
	v_mov_b32_e32 v25, v27
	v_mov_b32_e32 v22, v28
	v_lshlrev_b64 v[9:10], 2, v[9:10]
	v_mad_u64_u32 v[39:40], null, s16, v16, 0
	v_mad_u64_u32 v[27:28], null, s17, v20, v[24:25]
	v_lshlrev_b64 v[21:22], 2, v[21:22]
	v_add_co_u32 v59, s0, v33, v9
	v_add_co_ci_u32_e64 v60, s0, v34, v10, s0
	v_mad_u64_u32 v[31:32], null, s17, v19, v[25:26]
	v_mov_b32_e32 v24, v27
	v_add_co_u32 v9, s0, v59, v21
	v_add_co_ci_u32_e64 v10, s0, v60, v22, s0
	v_lshlrev_b64 v[21:22], 2, v[23:24]
	v_mad_u64_u32 v[24:25], null, s16, v14, 0
	v_mov_b32_e32 v23, v30
	v_mov_b32_e32 v27, v31
	v_mad_u64_u32 v[51:52], null, s16, v1, 0
	v_mad_u64_u32 v[53:54], null, s16, v11, 0
	;; [unrolled: 1-line block ×3, first 2 shown]
	v_mov_b32_e32 v23, v25
	v_add_co_u32 v31, s0, v59, v21
	v_add_co_ci_u32_e64 v32, s0, v60, v22, s0
	v_lshlrev_b64 v[21:22], 2, v[26:27]
	v_mad_u64_u32 v[26:27], null, s16, v5, 0
	v_mad_u64_u32 v[33:34], null, s17, v14, v[23:24]
	v_add_co_u32 v34, s0, v59, v21
	v_add_co_ci_u32_e64 v35, s0, v60, v22, s0
	v_lshlrev_b64 v[22:23], 2, v[29:30]
	v_mov_b32_e32 v21, v27
	v_mad_u64_u32 v[28:29], null, s16, v15, 0
	v_mov_b32_e32 v25, v33
	v_mad_u64_u32 v[36:37], null, s17, v5, v[21:22]
	v_add_co_u32 v37, s0, v59, v22
	v_lshlrev_b64 v[21:22], 2, v[24:25]
	v_mad_u64_u32 v[24:25], null, s16, v4, 0
	v_add_co_ci_u32_e64 v38, s0, v60, v23, s0
	v_mov_b32_e32 v23, v29
	v_mov_b32_e32 v27, v36
	v_add_co_u32 v21, s0, v59, v21
	v_add_co_ci_u32_e64 v22, s0, v60, v22, s0
	v_mad_u64_u32 v[29:30], null, s17, v15, v[23:24]
	v_mov_b32_e32 v23, v25
	v_lshlrev_b64 v[26:27], 2, v[26:27]
	v_mad_u64_u32 v[41:42], null, s17, v4, v[23:24]
	v_mad_u64_u32 v[42:43], null, s16, v3, 0
	v_mov_b32_e32 v23, v40
	v_add_co_u32 v26, s0, v59, v26
	v_lshlrev_b64 v[28:29], 2, v[28:29]
	v_mov_b32_e32 v25, v41
	v_mad_u64_u32 v[44:45], null, s17, v16, v[23:24]
	v_add_co_ci_u32_e64 v27, s0, v60, v27, s0
	v_lshlrev_b64 v[23:24], 2, v[24:25]
	v_mov_b32_e32 v25, v43
	v_add_co_u32 v28, s0, v59, v28
	v_mov_b32_e32 v40, v44
	v_mad_u64_u32 v[44:45], null, s16, v2, 0
	v_mad_u64_u32 v[46:47], null, s17, v3, v[25:26]
	;; [unrolled: 1-line block ×3, first 2 shown]
	v_lshlrev_b64 v[39:40], 2, v[39:40]
	v_add_co_ci_u32_e64 v29, s0, v60, v29, s0
	v_mov_b32_e32 v25, v45
	v_mov_b32_e32 v43, v46
	v_add_co_u32 v23, s0, v59, v23
	v_mov_b32_e32 v30, v48
	v_mad_u64_u32 v[45:46], null, s17, v2, v[25:26]
	v_lshlrev_b64 v[41:42], 2, v[42:43]
	v_add_co_ci_u32_e64 v24, s0, v60, v24, s0
	v_mad_u64_u32 v[48:49], null, s17, v13, v[30:31]
	v_mad_u64_u32 v[49:50], null, s16, v12, 0
	v_mov_b32_e32 v30, v52
	v_add_co_u32 v39, s0, v59, v39
	v_lshlrev_b64 v[43:44], 2, v[44:45]
	v_add_co_ci_u32_e64 v40, s0, v60, v40, s0
	v_mad_u64_u32 v[55:56], null, s17, v1, v[30:31]
	v_mov_b32_e32 v25, v50
	v_add_co_u32 v41, s0, v59, v41
	v_add_co_ci_u32_e64 v42, s0, v60, v42, s0
	v_mad_u64_u32 v[45:46], null, s17, v12, v[25:26]
	v_mov_b32_e32 v25, v54
	v_mov_b32_e32 v52, v55
	v_mad_u64_u32 v[55:56], null, s16, v0, 0
	v_add_co_u32 v43, s0, v59, v43
	v_mad_u64_u32 v[57:58], null, s17, v11, v[25:26]
	v_lshlrev_b64 v[46:47], 2, v[47:48]
	v_add_co_ci_u32_e64 v44, s0, v60, v44, s0
	v_mov_b32_e32 v50, v45
	v_mov_b32_e32 v25, v56
	global_load_dword v36, v[43:44], off
	v_add_co_u32 v45, s0, v59, v46
	v_lshlrev_b64 v[43:44], 2, v[49:50]
	v_mov_b32_e32 v54, v57
	v_mad_u64_u32 v[49:50], null, s17, v0, v[25:26]
	v_add_co_ci_u32_e64 v46, s0, v60, v47, s0
	v_lshlrev_b64 v[47:48], 2, v[51:52]
	v_add_co_u32 v43, s0, v59, v43
	v_lshlrev_b64 v[50:51], 2, v[53:54]
	v_add_co_ci_u32_e64 v44, s0, v60, v44, s0
	v_add_co_u32 v47, s0, v59, v47
	v_mov_b32_e32 v56, v49
	v_add_co_ci_u32_e64 v48, s0, v60, v48, s0
	v_add_co_u32 v49, s0, v59, v50
	v_add_co_ci_u32_e64 v50, s0, v60, v51, s0
	v_lshlrev_b64 v[51:52], 2, v[55:56]
	s_clause 0x3
	global_load_dword v53, v[23:24], off
	global_load_dword v24, v[28:29], off
	;; [unrolled: 1-line block ×4, first 2 shown]
	v_add_co_u32 v27, s0, v59, v51
	v_add_co_ci_u32_e64 v28, s0, v60, v52, s0
	s_clause 0xa
	global_load_dword v37, v[37:38], off
	global_load_dword v23, v[34:35], off
	;; [unrolled: 1-line block ×11, first 2 shown]
	s_waitcnt vmcnt(15)
	v_alignbit_b32 v35, v36, v36, 16
	s_waitcnt vmcnt(14)
	v_alignbit_b32 v28, v53, v53, 16
	s_waitcnt vmcnt(10)
	v_alignbit_b32 v27, v37, v37, 16
	s_waitcnt vmcnt(5)
	v_alignbit_b32 v36, v9, v9, 16
.LBB0_15:
	s_or_b32 exec_lo, exec_lo, s1
	v_mov_b32_e32 v10, s21
	v_or_b32_e32 v9, s20, v18
	s_xor_b32 s1, s6, -1
	v_cmp_gt_u64_e64 s0, s[8:9], v[9:10]
	s_and_b32 s7, vcc_lo, s0
	s_and_b32 s1, s1, s7
	s_and_saveexec_b32 s7, s1
	s_cbranch_execz .LBB0_17
; %bb.16:
	v_mad_u64_u32 v[21:22], null, s18, v18, 0
	v_mad_u64_u32 v[23:24], null, s16, v17, 0
	;; [unrolled: 1-line block ×3, first 2 shown]
	v_add_co_u32 v35, s1, s2, v7
	v_mov_b32_e32 v10, v22
	v_add_co_ci_u32_e64 v36, s1, s3, v8, s1
	v_mov_b32_e32 v22, v24
	v_mad_u64_u32 v[47:48], null, s16, v1, 0
	v_mad_u64_u32 v[27:28], null, s19, v18, v[10:11]
	;; [unrolled: 1-line block ×3, first 2 shown]
	s_waitcnt vmcnt(0)
	v_mad_u64_u32 v[30:31], null, s17, v17, v[22:23]
	v_mov_b32_e32 v10, v26
	v_mad_u64_u32 v[31:32], null, s16, v6, 0
	v_mov_b32_e32 v22, v27
	v_mov_b32_e32 v26, v29
	;; [unrolled: 1-line block ×3, first 2 shown]
	v_mad_u64_u32 v[29:30], null, s17, v20, v[10:11]
	v_lshlrev_b64 v[21:22], 2, v[21:22]
	v_mad_u64_u32 v[33:34], null, s17, v19, v[26:27]
	v_lshlrev_b64 v[23:24], 2, v[23:24]
	v_mov_b32_e32 v10, v32
	v_add_co_u32 v53, s1, v35, v21
	v_add_co_ci_u32_e64 v54, s1, v36, v22, s1
	v_mov_b32_e32 v26, v29
	v_add_co_u32 v20, s1, v53, v23
	v_add_co_ci_u32_e64 v21, s1, v54, v24, s1
	v_lshlrev_b64 v[22:23], 2, v[25:26]
	v_mad_u64_u32 v[24:25], null, s16, v14, 0
	v_mov_b32_e32 v29, v33
	v_mad_u64_u32 v[26:27], null, s17, v6, v[10:11]
	v_add_co_u32 v22, s1, v53, v22
	v_lshlrev_b64 v[27:28], 2, v[28:29]
	v_mov_b32_e32 v6, v25
	v_mad_u64_u32 v[29:30], null, s16, v5, 0
	v_mov_b32_e32 v32, v26
	v_mad_u64_u32 v[35:36], null, s16, v4, 0
	v_mad_u64_u32 v[33:34], null, s17, v14, v[6:7]
	v_lshlrev_b64 v[31:32], 2, v[31:32]
	v_mov_b32_e32 v6, v30
	v_add_co_ci_u32_e64 v23, s1, v54, v23, s1
	v_add_co_u32 v26, s1, v53, v27
	v_mov_b32_e32 v25, v33
	v_mad_u64_u32 v[33:34], null, s16, v15, 0
	v_mad_u64_u32 v[5:6], null, s17, v5, v[6:7]
	v_lshlrev_b64 v[24:25], 2, v[24:25]
	v_add_co_ci_u32_e64 v27, s1, v54, v28, s1
	v_add_co_u32 v31, s1, v53, v31
	v_mov_b32_e32 v6, v34
	v_mov_b32_e32 v30, v5
	v_add_co_ci_u32_e64 v32, s1, v54, v32, s1
	v_add_co_u32 v37, s1, v53, v24
	v_mad_u64_u32 v[5:6], null, s17, v15, v[6:7]
	v_mov_b32_e32 v6, v36
	v_add_co_ci_u32_e64 v38, s1, v54, v25, s1
	v_lshlrev_b64 v[24:25], 2, v[29:30]
	v_mad_u64_u32 v[28:29], null, s16, v16, 0
	v_mad_u64_u32 v[39:40], null, s17, v4, v[6:7]
	v_mov_b32_e32 v34, v5
	v_add_co_u32 v4, s1, v53, v24
	v_add_co_ci_u32_e64 v5, s1, v54, v25, s1
	v_lshlrev_b64 v[24:25], 2, v[33:34]
	v_mad_u64_u32 v[33:34], null, s16, v3, 0
	v_mov_b32_e32 v6, v29
	v_mov_b32_e32 v36, v39
	v_add_co_u32 v39, s1, v53, v24
	v_mad_u64_u32 v[29:30], null, s17, v16, v[6:7]
	v_add_co_ci_u32_e64 v40, s1, v54, v25, s1
	v_lshlrev_b64 v[24:25], 2, v[35:36]
	v_mov_b32_e32 v6, v34
	v_mad_u64_u32 v[35:36], null, s16, v13, 0
	v_mad_u64_u32 v[41:42], null, s17, v3, v[6:7]
	v_add_co_u32 v42, s1, v53, v24
	v_add_co_ci_u32_e64 v43, s1, v54, v25, s1
	v_lshlrev_b64 v[24:25], 2, v[28:29]
	v_mad_u64_u32 v[28:29], null, s16, v2, 0
	v_mov_b32_e32 v3, v36
	v_mov_b32_e32 v34, v41
	v_mad_u64_u32 v[44:45], null, s17, v13, v[3:4]
	v_add_co_u32 v45, s1, v53, v24
	v_mov_b32_e32 v3, v29
	v_add_co_ci_u32_e64 v46, s1, v54, v25, s1
	v_lshlrev_b64 v[24:25], 2, v[33:34]
	v_mad_u64_u32 v[33:34], null, s16, v12, 0
	v_mad_u64_u32 v[2:3], null, s17, v2, v[3:4]
	v_mov_b32_e32 v36, v44
	v_add_co_u32 v49, s1, v53, v24
	v_add_co_ci_u32_e64 v50, s1, v54, v25, s1
	v_mov_b32_e32 v3, v34
	v_mov_b32_e32 v29, v2
	;; [unrolled: 1-line block ×3, first 2 shown]
	v_lshlrev_b64 v[24:25], 2, v[35:36]
	v_mad_u64_u32 v[34:35], null, s17, v12, v[3:4]
	v_mad_u64_u32 v[35:36], null, s16, v11, 0
	;; [unrolled: 1-line block ×4, first 2 shown]
	v_add_co_u32 v51, s1, v53, v24
	v_mov_b32_e32 v6, v36
	v_add_co_ci_u32_e64 v52, s1, v54, v25, s1
	v_lshlrev_b64 v[24:25], 2, v[28:29]
	v_mov_b32_e32 v48, v1
	v_mov_b32_e32 v1, v3
	v_mad_u64_u32 v[28:29], null, s17, v11, v[6:7]
	v_add_co_u32 v29, s1, v53, v24
	v_mad_u64_u32 v[0:1], null, s17, v0, v[1:2]
	v_add_co_ci_u32_e64 v30, s1, v54, v25, s1
	v_lshlrev_b64 v[24:25], 2, v[33:34]
	v_mov_b32_e32 v36, v28
	v_lshlrev_b64 v[33:34], 2, v[47:48]
	v_mov_b32_e32 v3, v0
	v_add_co_u32 v47, s1, v53, v24
	v_add_co_ci_u32_e64 v48, s1, v54, v25, s1
	v_lshlrev_b64 v[24:25], 2, v[35:36]
	v_add_co_u32 v0, s1, v53, v33
	v_lshlrev_b64 v[2:3], 2, v[2:3]
	v_add_co_ci_u32_e64 v1, s1, v54, v34, s1
	v_add_co_u32 v35, s1, v53, v24
	v_add_co_ci_u32_e64 v36, s1, v54, v25, s1
	v_add_co_u32 v2, s1, v53, v2
	v_add_co_ci_u32_e64 v3, s1, v54, v3, s1
	s_clause 0xf
	global_load_dword v21, v[20:21], off
	global_load_dword v25, v[22:23], off
	;; [unrolled: 1-line block ×16, first 2 shown]
	s_waitcnt vmcnt(12)
	v_alignbit_b32 v27, v6, v6, 16
	s_waitcnt vmcnt(8)
	v_alignbit_b32 v28, v4, v4, 16
	;; [unrolled: 2-line block ×4, first 2 shown]
.LBB0_17:
	s_or_b32 exec_lo, exec_lo, s7
	v_lshlrev_b32_e32 v10, 2, v18
	s_and_saveexec_b32 s1, vcc_lo
	s_cbranch_execz .LBB0_19
; %bb.18:
	v_pk_add_f16 v0, v27, v35 neg_lo:[0,1] neg_hi:[0,1]
	s_waitcnt vmcnt(1)
	v_pk_add_f16 v1, v25, v33 neg_lo:[0,1] neg_hi:[0,1]
	v_pk_add_f16 v2, v26, v34 neg_lo:[0,1] neg_hi:[0,1]
	;; [unrolled: 1-line block ×3, first 2 shown]
	s_waitcnt vmcnt(0)
	v_pk_add_f16 v4, v21, v30 neg_lo:[0,1] neg_hi:[0,1]
	v_lshrrev_b32_e32 v5, 16, v0
	v_pk_add_f16 v6, v22, v31 neg_lo:[0,1] neg_hi:[0,1]
	v_pk_add_f16 v20, v23, v32 neg_lo:[0,1] neg_hi:[0,1]
	;; [unrolled: 1-line block ×3, first 2 shown]
	v_lshrrev_b32_e32 v30, 16, v1
	v_add_f16_e32 v31, v5, v3
	v_add_f16_sdwa v32, v4, v6 dst_sel:DWORD dst_unused:UNUSED_PAD src0_sel:DWORD src1_sel:WORD_1
	v_lshrrev_b32_e32 v33, 16, v20
	v_add_f16_sdwa v34, v20, v29 dst_sel:DWORD dst_unused:UNUSED_PAD src0_sel:DWORD src1_sel:WORD_1
	v_add_f16_sdwa v35, v1, v2 dst_sel:DWORD dst_unused:UNUSED_PAD src0_sel:DWORD src1_sel:WORD_1
	v_sub_f16_e32 v36, v30, v2
	v_sub_f16_sdwa v37, v0, v3 dst_sel:DWORD dst_unused:UNUSED_PAD src0_sel:DWORD src1_sel:WORD_1
	v_sub_f16_e32 v38, v33, v29
	v_fmamk_f16 v39, v34, 0x39a8, v32
	v_fmamk_f16 v40, v31, 0x39a8, v35
	v_lshrrev_b32_e32 v42, 16, v4
	v_fmamk_f16 v41, v37, 0x39a8, v36
	v_fma_f16 v5, v5, 2.0, -v31
	v_fmac_f16_e32 v39, 0x39a8, v38
	v_fmac_f16_e32 v40, 0x39a8, v37
	v_sub_f16_e32 v45, v42, v6
	v_fmac_f16_e32 v41, 0xb9a8, v31
	v_fma_f16 v31, v33, 2.0, -v38
	v_fma_f16 v43, v32, 2.0, -v39
	;; [unrolled: 1-line block ×10, first 2 shown]
	v_fmamk_f16 v48, v33, 0xb9a8, v32
	v_fmamk_f16 v49, v5, 0xb9a8, v35
	v_pk_fma_f16 v1, v25, 2.0, v1 op_sel_hi:[1,0,1] neg_lo:[0,0,1] neg_hi:[0,0,1]
	v_pk_fma_f16 v2, v26, 2.0, v2 op_sel_hi:[1,0,1] neg_lo:[0,0,1] neg_hi:[0,0,1]
	;; [unrolled: 1-line block ×8, first 2 shown]
	v_fmamk_f16 v42, v37, 0xb9a8, v30
	v_fmamk_f16 v50, v31, 0xb9a8, v36
	v_fmac_f16_e32 v48, 0x39a8, v31
	v_fmac_f16_e32 v49, 0x39a8, v37
	v_pk_add_f16 v2, v1, v2 neg_lo:[0,1] neg_hi:[0,1]
	v_pk_add_f16 v3, v0, v3 neg_lo:[0,1] neg_hi:[0,1]
	;; [unrolled: 1-line block ×4, first 2 shown]
	v_fmac_f16_e32 v42, 0xb9a8, v5
	v_fmac_f16_e32 v50, 0xb9a8, v33
	v_fma_f16 v32, v32, 2.0, -v48
	v_fma_f16 v22, v35, 2.0, -v49
	v_pk_add_f16 v25, v2, v3
	v_pk_add_f16 v26, v2, v3 neg_lo:[0,1] neg_hi:[0,1]
	v_pk_add_f16 v27, v6, v21 op_sel:[0,1] op_sel_hi:[1,0]
	v_pk_add_f16 v28, v6, v21 op_sel:[0,1] op_sel_hi:[1,0] neg_lo:[0,1] neg_hi:[0,1]
	v_fma_f16 v30, v30, 2.0, -v42
	v_fmamk_f16 v23, v22, 0xbb64, v32
	v_fma_f16 v24, v36, 2.0, -v50
	v_bfi_b32 v25, 0xffff, v25, v26
	v_bfi_b32 v26, 0xffff, v27, v28
	v_pk_fma_f16 v4, v4, 2.0, v6 op_sel_hi:[1,0,1] neg_lo:[0,0,1] neg_hi:[0,0,1]
	v_fmac_f16_e32 v23, 0x361f, v30
	v_fmamk_f16 v29, v30, 0xbb64, v24
	v_pk_fma_f16 v28, v2, 2.0, v25 op_sel_hi:[1,0,1] neg_lo:[0,0,1] neg_hi:[0,0,1]
	v_pk_fma_f16 v30, v6, 2.0, v26 op_sel_hi:[1,0,1] neg_lo:[0,0,1] neg_hi:[0,0,1]
	;; [unrolled: 1-line block ×5, first 2 shown]
	v_fmamk_f16 v38, v38, 0x39a8, v45
	v_fmac_f16_e32 v29, 0xb61f, v22
	v_lshlrev_b32_e32 v22, 10, v17
	v_pk_mul_f16 v2, 0x39a8, v28 op_sel_hi:[0,1]
	v_pk_fma_f16 v3, 0x39a8, v28, v30 op_sel_hi:[0,1,1] neg_lo:[0,1,0] neg_hi:[0,1,0]
	v_pk_add_f16 v6, v4, v6 neg_lo:[0,1] neg_hi:[0,1]
	v_pk_add_f16 v0, v1, v0 op_sel:[1,0] op_sel_hi:[0,1] neg_lo:[0,1] neg_hi:[0,1]
	v_fmac_f16_e32 v38, 0xb9a8, v34
	v_add3_u32 v21, 0, v22, v10
	v_pk_add_f16 v22, v3, v2 op_sel:[0,1] op_sel_hi:[1,0]
	v_pk_add_f16 v2, v3, v2 op_sel:[0,1] op_sel_hi:[1,0] neg_lo:[0,1] neg_hi:[0,1]
	v_pk_fma_f16 v3, v4, 2.0, v6 op_sel_hi:[1,0,1] neg_lo:[0,0,1] neg_hi:[0,0,1]
	v_pk_fma_f16 v1, v1, 2.0, v0 op_sel:[1,0,0] op_sel_hi:[0,0,1] neg_lo:[0,0,1] neg_hi:[0,0,1]
	v_fma_f16 v5, v45, 2.0, -v38
	v_fma_f16 v20, v24, 2.0, -v29
	v_pk_mul_f16 v4, 0x39a8, v25 op_sel_hi:[0,1]
	v_pk_fma_f16 v24, 0x39a8, v25, v26 op_sel_hi:[0,1,1]
	v_pk_add_f16 v1, v3, v1 op_sel:[0,1] op_sel_hi:[1,0] neg_lo:[0,1] neg_hi:[0,1]
	v_fmamk_f16 v47, v44, 0xb61f, v43
	v_fmamk_f16 v45, v46, 0xb61f, v5
	;; [unrolled: 1-line block ×6, first 2 shown]
	v_pk_add_f16 v25, v24, v4 op_sel:[0,1] op_sel_hi:[1,0]
	v_pk_add_f16 v4, v24, v4 op_sel:[0,1] op_sel_hi:[1,0] neg_lo:[0,1] neg_hi:[0,1]
	v_lshrrev_b32_e32 v24, 16, v3
	v_lshrrev_b32_e32 v28, 16, v1
	v_fmac_f16_e32 v47, 0x3b64, v46
	v_fmac_f16_e32 v45, 0xbb64, v44
	;; [unrolled: 1-line block ×4, first 2 shown]
	v_bfi_b32 v2, 0xffff, v22, v2
	v_pk_add_f16 v22, v6, v0
	v_pk_add_f16 v0, v6, v0 neg_lo:[0,1] neg_hi:[0,1]
	v_fmac_f16_e32 v31, 0x361f, v41
	v_fmac_f16_e32 v33, 0xb61f, v40
	v_fma_f16 v24, v24, 2.0, -v28
	v_fma_f16 v43, v43, 2.0, -v47
	;; [unrolled: 1-line block ×5, first 2 shown]
	v_bfi_b32 v0, 0xffff, v22, v0
	v_fma_f16 v39, v39, 2.0, -v31
	v_fma_f16 v38, v38, 2.0, -v33
	v_bfi_b32 v4, 0xffff, v25, v4
	v_fma_f16 v27, v32, 2.0, -v23
	v_lshlrev_b32_e32 v24, 16, v24
	v_fma_f16 v3, v3, 2.0, -v1
	v_pk_fma_f16 v22, v30, 2.0, v2 op_sel_hi:[1,0,1] neg_lo:[0,0,1] neg_hi:[0,0,1]
	v_pack_b32_f16 v5, v43, v5
	v_pk_fma_f16 v6, v6, 2.0, v0 op_sel_hi:[1,0,1] neg_lo:[0,0,1] neg_hi:[0,0,1]
	v_pack_b32_f16 v25, v40, v41
	;; [unrolled: 2-line block ×3, first 2 shown]
	v_pack_b32_f16 v20, v27, v20
	v_or_b32_sdwa v3, v24, v3 dst_sel:DWORD dst_unused:UNUSED_PAD src0_sel:DWORD src1_sel:WORD_0
	ds_write2_b32 v21, v22, v5 offset0:32 offset1:48
	ds_write2_b32 v21, v6, v25 offset0:64 offset1:80
	;; [unrolled: 1-line block ×3, first 2 shown]
	v_pack_b32_f16 v5, v23, v29
	v_pack_b32_f16 v6, v47, v45
	;; [unrolled: 1-line block ×4, first 2 shown]
	ds_write2_b32 v21, v3, v20 offset1:16
	ds_write2_b32 v21, v1, v5 offset0:128 offset1:144
	ds_write2_b32 v21, v2, v6 offset0:160 offset1:176
	;; [unrolled: 1-line block ×4, first 2 shown]
.LBB0_19:
	s_or_b32 exec_lo, exec_lo, s1
	s_or_b32 s0, s6, s0
	s_waitcnt vmcnt(0) lgkmcnt(0)
	s_barrier
	buffer_gl0_inv
	s_and_saveexec_b32 s1, s0
	s_cbranch_execz .LBB0_21
; %bb.20:
	v_mul_u32_u24_e32 v0, 7, v17
	v_mul_lo_u32 v33, v11, v9
	v_mul_lo_u32 v34, v12, v9
	;; [unrolled: 1-line block ×3, first 2 shown]
	v_lshlrev_b32_e32 v42, 4, v9
	v_lshlrev_b32_e32 v4, 2, v0
	;; [unrolled: 1-line block ×3, first 2 shown]
	v_mul_lo_u32 v9, v15, v9
	v_mad_u64_u32 v[20:21], null, s18, v18, 0
	s_clause 0x1
	global_load_dwordx4 v[0:3], v4, s[4:5]
	global_load_dwordx3 v[4:6], v4, s[4:5] offset:16
	v_mad_u64_u32 v[22:23], null, s16, v17, 0
	v_lshlrev_b32_e32 v32, 6, v17
	v_add_co_u32 v44, vcc_lo, s2, v7
	v_lshrrev_b32_e32 v52, 8, v9
	v_and_b32_e32 v53, 31, v9
	v_add3_u32 v38, 0, v32, v10
	v_lshrrev_b32_e32 v54, 3, v9
	v_mov_b32_e32 v9, v21
	v_mov_b32_e32 v10, v23
	v_lshrrev_b32_e32 v40, 8, v33
	v_and_b32_e32 v41, 31, v33
	v_lshrrev_b32_e32 v46, 3, v33
	v_add_co_ci_u32_e32 v45, vcc_lo, s3, v8, vcc_lo
	v_mad_u64_u32 v[32:33], null, s19, v18, v[9:10]
	v_mad_u64_u32 v[7:8], null, s16, v19, 0
	;; [unrolled: 1-line block ×6, first 2 shown]
	v_lshrrev_b32_e32 v47, 8, v34
	v_and_b32_e32 v48, 31, v34
	v_lshrrev_b32_e32 v49, 3, v34
	v_and_b32_e32 v50, 31, v35
	v_sub_nc_u32_e32 v51, v34, v42
	v_lshrrev_b32_e32 v55, 8, v35
	v_lshrrev_b32_e32 v56, 3, v35
	v_mov_b32_e32 v21, v32
	ds_read2st64_b32 v[32:33], v38 offset1:4
	ds_read2st64_b32 v[34:35], v38 offset0:16 offset1:20
	ds_read2st64_b32 v[36:37], v38 offset0:8 offset1:12
	ds_read2st64_b32 v[38:39], v38 offset0:24 offset1:28
	v_mad_u64_u32 v[24:25], null, s16, v14, 0
	v_mad_u64_u32 v[17:18], null, s17, v19, v[8:9]
	v_mov_b32_e32 v10, v27
	v_mov_b32_e32 v18, v29
	;; [unrolled: 1-line block ×4, first 2 shown]
	v_lshl_add_u32 v57, v41, 2, 0
	v_mad_u64_u32 v[9:10], null, s17, v15, v[10:11]
	v_mov_b32_e32 v8, v17
	v_and_b32_e32 v17, 0x7c, v40
	v_mad_u64_u32 v[40:41], null, s17, v14, v[25:26]
	v_and_b32_e32 v10, 31, v51
	v_mad_u64_u32 v[14:15], null, s17, v16, v[18:19]
	v_lshrrev_b32_e32 v18, 3, v51
	v_and_b32_e32 v27, 0x7c, v46
	v_lshl_add_u32 v46, v48, 2, 0
	v_and_b32_e32 v48, 0x7c, v52
	v_lshl_add_u32 v52, v10, 2, 0
	v_and_b32_e32 v10, 0x7c, v18
	s_add_i32 s0, 0, 0x2000
	v_and_b32_e32 v29, 0x7c, v47
	v_mad_u64_u32 v[15:16], null, s17, v13, v[19:20]
	v_and_b32_e32 v31, 0x7c, v49
	v_add_nc_u32_e32 v16, s0, v27
	v_mov_b32_e32 v27, v9
	v_add_nc_u32_e32 v59, s0, v10
	v_lshlrev_b64 v[9:10], 2, v[20:21]
	s_waitcnt lgkmcnt(1)
	v_lshrrev_b32_e32 v21, 16, v37
	v_lshrrev_b32_e32 v25, 8, v51
	v_add_nc_u32_e32 v13, s0, v17
	v_lshrrev_b32_e32 v20, 16, v36
	v_add_nc_u32_e32 v17, s0, v29
	v_lshl_add_u32 v47, v50, 2, 0
	v_add_nc_u32_e32 v19, s0, v31
	v_sub_nc_u32_e32 v41, v51, v42
	v_lshl_add_u32 v49, v53, 2, 0
	v_and_b32_e32 v50, 0x7c, v54
	v_and_b32_e32 v51, 0x7c, v25
	v_mov_b32_e32 v25, v40
	v_mov_b32_e32 v29, v14
	ds_read_b32 v53, v13 offset:256
	ds_read_b32 v54, v57 offset:8192
	ds_read_b32 v57, v16 offset:128
	ds_read_b32 v17, v17 offset:256
	ds_read_u16 v46, v46 offset:8192
	ds_read_b32 v19, v19 offset:128
	ds_read_b32 v58, v47 offset:8192
	ds_read_u16 v47, v47 offset:8194
	v_lshlrev_b64 v[13:14], 2, v[22:23]
	v_lshrrev_b32_e32 v23, 16, v33
	v_add_co_u32 v44, vcc_lo, v44, v9
	v_lshrrev_b32_e32 v22, 16, v34
	v_add_co_ci_u32_e32 v45, vcc_lo, v45, v10, vcc_lo
	v_lshlrev_b64 v[9:10], 2, v[24:25]
	v_lshlrev_b64 v[7:8], 2, v[7:8]
	v_mov_b32_e32 v31, v15
	v_lshlrev_b64 v[15:16], 2, v[26:27]
	v_lshrrev_b32_e32 v27, 16, v35
	s_waitcnt lgkmcnt(8)
	v_lshrrev_b32_e32 v26, 16, v38
	v_sub_nc_u32_e32 v18, v41, v43
	v_lshrrev_b32_e32 v43, 8, v41
	v_and_b32_e32 v40, 31, v41
	v_lshrrev_b32_e32 v41, 3, v41
	v_add_nc_u32_e32 v51, s0, v51
	v_sub_nc_u32_e32 v42, v18, v42
	v_and_b32_e32 v43, 0x7c, v43
	v_lshl_add_u32 v40, v40, 2, 0
	v_and_b32_e32 v41, 0x7c, v41
	v_add_nc_u32_e32 v48, s0, v48
	v_add_nc_u32_e32 v50, s0, v50
	v_and_b32_e32 v55, 0x7c, v55
	v_add_nc_u32_e32 v55, s0, v55
	s_waitcnt vmcnt(1)
	v_mul_f16_sdwa v61, v2, v21 dst_sel:DWORD dst_unused:UNUSED_PAD src0_sel:WORD_1 src1_sel:DWORD
	v_mul_f16_sdwa v62, v0, v33 dst_sel:DWORD dst_unused:UNUSED_PAD src0_sel:WORD_1 src1_sel:DWORD
	;; [unrolled: 1-line block ×4, first 2 shown]
	v_fmac_f16_e32 v61, v2, v37
	v_mul_f16_sdwa v37, v3, v34 dst_sel:DWORD dst_unused:UNUSED_PAD src0_sel:WORD_1 src1_sel:DWORD
	v_fma_f16 v24, v0, v23, -v62
	v_mul_f16_sdwa v23, v0, v23 dst_sel:DWORD dst_unused:UNUSED_PAD src0_sel:WORD_1 src1_sel:DWORD
	v_fmac_f16_e32 v60, v1, v36
	v_mul_f16_sdwa v36, v1, v36 dst_sel:DWORD dst_unused:UNUSED_PAD src0_sel:WORD_1 src1_sel:DWORD
	v_fma_f16 v25, v3, v22, -v37
	v_mul_f16_sdwa v22, v3, v22 dst_sel:DWORD dst_unused:UNUSED_PAD src0_sel:WORD_1 src1_sel:DWORD
	v_fmac_f16_e32 v23, v0, v33
	v_add_co_u32 v0, vcc_lo, v44, v13
	v_fma_f16 v20, v1, v20, -v36
	v_add_co_ci_u32_e32 v1, vcc_lo, v45, v14, vcc_lo
	v_fma_f16 v21, v2, v21, -v63
	v_add_co_u32 v2, vcc_lo, v44, v7
	v_fmac_f16_e32 v22, v3, v34
	s_waitcnt vmcnt(0)
	v_mul_f16_sdwa v34, v4, v27 dst_sel:DWORD dst_unused:UNUSED_PAD src0_sel:WORD_1 src1_sel:DWORD
	v_add_co_ci_u32_e32 v3, vcc_lo, v45, v8, vcc_lo
	v_add_co_u32 v7, vcc_lo, v44, v9
	v_add_co_ci_u32_e32 v8, vcc_lo, v45, v10, vcc_lo
	v_add_co_u32 v9, vcc_lo, v44, v15
	v_mul_f16_sdwa v15, v26, v5 dst_sel:DWORD dst_unused:UNUSED_PAD src0_sel:DWORD src1_sel:WORD_1
	v_fmac_f16_e32 v34, v4, v35
	v_mul_f16_sdwa v13, v4, v35 dst_sel:DWORD dst_unused:UNUSED_PAD src0_sel:WORD_1 src1_sel:DWORD
	v_mul_f16_sdwa v35, v5, v38 dst_sel:DWORD dst_unused:UNUSED_PAD src0_sel:WORD_1 src1_sel:DWORD
	v_lshrrev_b32_e32 v33, 16, v39
	v_fmac_f16_e32 v15, v5, v38
	v_add_co_ci_u32_e32 v10, vcc_lo, v45, v16, vcc_lo
	v_fma_f16 v26, v26, v5, -v35
	s_waitcnt lgkmcnt(6)
	v_lshrrev_b32_e32 v5, 16, v54
	s_waitcnt lgkmcnt(5)
	v_mul_f16_sdwa v35, v54, v57 dst_sel:DWORD dst_unused:UNUSED_PAD src0_sel:DWORD src1_sel:WORD_1
	v_mul_f16_sdwa v16, v33, v6 dst_sel:DWORD dst_unused:UNUSED_PAD src0_sel:DWORD src1_sel:WORD_1
	;; [unrolled: 1-line block ×3, first 2 shown]
	s_waitcnt lgkmcnt(1)
	v_lshrrev_b32_e32 v37, 16, v58
	v_mul_f16_sdwa v38, v46, v19 dst_sel:DWORD dst_unused:UNUSED_PAD src0_sel:DWORD src1_sel:WORD_1
	v_fmac_f16_e32 v35, v5, v57
	v_mul_f16_sdwa v5, v5, v57 dst_sel:DWORD dst_unused:UNUSED_PAD src0_sel:DWORD src1_sel:WORD_1
	v_fmac_f16_e32 v16, v39, v6
	v_lshrrev_b32_e32 v36, 8, v18
	v_fma_f16 v27, v4, v27, -v13
	v_and_b32_e32 v4, 31, v18
	v_lshrrev_b32_e32 v13, 3, v18
	v_fma_f16 v18, v33, v6, -v14
	v_and_b32_e32 v6, 31, v42
	v_add_nc_u32_e32 v33, s0, v41
	v_fmac_f16_e32 v38, v37, v19
	v_mul_f16_sdwa v37, v37, v19 dst_sel:DWORD dst_unused:UNUSED_PAD src0_sel:DWORD src1_sel:WORD_1
	v_fma_f16 v5, v54, v57, -v5
	v_lshl_add_u32 v6, v6, 2, 0
	v_add_nc_u32_e32 v14, s0, v43
	v_mul_f16_sdwa v39, v35, v53 dst_sel:DWORD dst_unused:UNUSED_PAD src0_sel:DWORD src1_sel:WORD_1
	v_fma_f16 v19, v46, v19, -v37
	ds_read_b32 v37, v51 offset:256
	ds_read_u16 v41, v52 offset:8192
	ds_read_b32 v43, v59 offset:128
	ds_read_b32 v46, v6 offset:8192
	ds_read_u16 v6, v6 offset:8194
	ds_read_b32 v51, v14 offset:256
	ds_read_u16 v14, v40 offset:8192
	ds_read_u16 v40, v40 offset:8194
	v_mul_f16_sdwa v52, v5, v53 dst_sel:DWORD dst_unused:UNUSED_PAD src0_sel:DWORD src1_sel:WORD_1
	ds_read_b32 v33, v33 offset:128
	v_and_b32_e32 v36, 0x7c, v36
	v_and_b32_e32 v13, 0x7c, v13
	v_fma_f16 v39, v53, v5, -v39
	v_lshrrev_b32_e32 v5, 3, v42
	v_fmac_f16_e32 v52, v53, v35
	ds_read_b32 v35, v48 offset:256
	ds_read_b32 v48, v49 offset:8192
	v_add_nc_u32_e32 v36, s0, v36
	v_lshl_add_u32 v4, v4, 2, 0
	v_mul_f16_sdwa v49, v38, v17 dst_sel:DWORD dst_unused:UNUSED_PAD src0_sel:DWORD src1_sel:WORD_1
	v_add_nc_u32_e32 v13, s0, v13
	v_and_b32_e32 v5, 0x7c, v5
	ds_read_b32 v50, v50 offset:128
	ds_read_b32 v36, v36 offset:256
	ds_read_u16 v53, v4 offset:8192
	ds_read_b32 v13, v13 offset:128
	ds_read_u16 v4, v4 offset:8194
	v_fma_f16 v49, v17, v19, -v49
	v_mul_f16_sdwa v19, v19, v17 dst_sel:DWORD dst_unused:UNUSED_PAD src0_sel:DWORD src1_sel:WORD_1
	v_and_b32_e32 v54, 0x7c, v56
	v_add_nc_u32_e32 v5, s0, v5
	v_lshrrev_b32_e32 v42, 8, v42
	ds_read_b32 v55, v55 offset:256
	v_fmac_f16_e32 v19, v17, v38
	s_waitcnt lgkmcnt(8)
	v_mul_f16_sdwa v17, v40, v33 dst_sel:DWORD dst_unused:UNUSED_PAD src0_sel:DWORD src1_sel:WORD_1
	v_add_nc_u32_e32 v38, s0, v54
	ds_read_b32 v5, v5 offset:128
	v_mul_f16_sdwa v54, v14, v33 dst_sel:DWORD dst_unused:UNUSED_PAD src0_sel:DWORD src1_sel:WORD_1
	v_and_b32_e32 v42, 0x7c, v42
	v_fma_f16 v14, v14, v33, -v17
	ds_read_b32 v38, v38 offset:128
	s_waitcnt lgkmcnt(8)
	v_lshrrev_b32_e32 v17, 16, v48
	v_fmac_f16_e32 v54, v40, v33
	s_waitcnt lgkmcnt(7)
	v_mul_f16_sdwa v33, v48, v50 dst_sel:DWORD dst_unused:UNUSED_PAD src0_sel:DWORD src1_sel:WORD_1
	v_add_nc_u32_e32 v42, s0, v42
	v_sub_f16_e32 v15, v60, v15
	v_mul_f16_sdwa v40, v17, v50 dst_sel:DWORD dst_unused:UNUSED_PAD src0_sel:DWORD src1_sel:WORD_1
	v_sub_f16_e32 v27, v24, v27
	v_fmac_f16_e32 v33, v17, v50
	ds_read_b32 v42, v42 offset:256
	s_waitcnt lgkmcnt(4)
	v_mul_f16_sdwa v17, v4, v13 dst_sel:DWORD dst_unused:UNUSED_PAD src0_sel:DWORD src1_sel:WORD_1
	v_fma_f16 v40, v48, v50, -v40
	v_mul_f16_sdwa v48, v41, v43 dst_sel:DWORD dst_unused:UNUSED_PAD src0_sel:DWORD src1_sel:WORD_1
	v_lshrrev_b32_e32 v50, 16, v46
	v_sub_f16_e32 v16, v61, v16
	v_fma_f16 v17, v53, v13, -v17
	v_mul_f16_sdwa v53, v53, v13 dst_sel:DWORD dst_unused:UNUSED_PAD src0_sel:DWORD src1_sel:WORD_1
	s_waitcnt lgkmcnt(2)
	v_mul_f16_sdwa v56, v46, v5 dst_sel:DWORD dst_unused:UNUSED_PAD src0_sel:DWORD src1_sel:WORD_1
	v_fmac_f16_e32 v48, v50, v43
	v_mul_f16_sdwa v50, v50, v43 dst_sel:DWORD dst_unused:UNUSED_PAD src0_sel:DWORD src1_sel:WORD_1
	v_sub_f16_e32 v34, v23, v34
	v_fmac_f16_e32 v53, v4, v13
	v_mul_f16_sdwa v4, v6, v5 dst_sel:DWORD dst_unused:UNUSED_PAD src0_sel:DWORD src1_sel:WORD_1
	v_fmac_f16_e32 v56, v6, v5
	v_fma_f16 v41, v41, v43, -v50
	s_waitcnt lgkmcnt(1)
	v_mul_f16_sdwa v43, v58, v38 dst_sel:DWORD dst_unused:UNUSED_PAD src0_sel:DWORD src1_sel:WORD_1
	v_mul_f16_sdwa v6, v33, v35 dst_sel:DWORD dst_unused:UNUSED_PAD src0_sel:DWORD src1_sel:WORD_1
	;; [unrolled: 1-line block ×3, first 2 shown]
	v_fma_f16 v46, v46, v5, -v4
	v_mad_u64_u32 v[4:5], null, s16, v12, 0
	v_fmac_f16_e32 v43, v47, v38
	v_fma_f16 v47, v35, v40, -v6
	v_mul_f16_sdwa v40, v40, v35 dst_sel:DWORD dst_unused:UNUSED_PAD src0_sel:DWORD src1_sel:WORD_1
	v_fma_f16 v50, v58, v38, -v13
	v_mul_f16_sdwa v13, v54, v51 dst_sel:DWORD dst_unused:UNUSED_PAD src0_sel:DWORD src1_sel:WORD_1
	v_mul_f16_sdwa v38, v14, v51 dst_sel:DWORD dst_unused:UNUSED_PAD src0_sel:DWORD src1_sel:WORD_1
	v_mad_u64_u32 v[5:6], null, s17, v12, v[5:6]
	v_fmac_f16_e32 v40, v35, v33
	v_mul_f16_sdwa v33, v53, v36 dst_sel:DWORD dst_unused:UNUSED_PAD src0_sel:DWORD src1_sel:WORD_1
	v_fma_f16 v57, v51, v14, -v13
	v_mad_u64_u32 v[13:14], null, s16, v11, 0
	v_mul_f16_sdwa v35, v17, v36 dst_sel:DWORD dst_unused:UNUSED_PAD src0_sel:DWORD src1_sel:WORD_1
	v_mul_f16_sdwa v6, v48, v37 dst_sel:DWORD dst_unused:UNUSED_PAD src0_sel:DWORD src1_sel:WORD_1
	v_fma_f16 v12, v36, v17, -v33
	v_lshrrev_b32_e32 v33, 16, v32
	v_fmac_f16_e32 v38, v51, v54
	v_mul_f16_sdwa v17, v41, v37 dst_sel:DWORD dst_unused:UNUSED_PAD src0_sel:DWORD src1_sel:WORD_1
	v_fmac_f16_e32 v35, v36, v53
	s_waitcnt lgkmcnt(0)
	v_mul_f16_sdwa v36, v56, v42 dst_sel:DWORD dst_unused:UNUSED_PAD src0_sel:DWORD src1_sel:WORD_1
	v_fma_f16 v41, v37, v41, -v6
	v_mul_f16_sdwa v51, v46, v42 dst_sel:DWORD dst_unused:UNUSED_PAD src0_sel:DWORD src1_sel:WORD_1
	v_mov_b32_e32 v6, v14
	v_mul_f16_sdwa v14, v50, v55 dst_sel:DWORD dst_unused:UNUSED_PAD src0_sel:DWORD src1_sel:WORD_1
	v_sub_f16_e32 v25, v33, v25
	v_sub_f16_e32 v18, v21, v18
	;; [unrolled: 1-line block ×4, first 2 shown]
	v_fmac_f16_e32 v17, v37, v48
	v_mul_f16_sdwa v37, v43, v55 dst_sel:DWORD dst_unused:UNUSED_PAD src0_sel:DWORD src1_sel:WORD_1
	v_fma_f16 v36, v42, v46, -v36
	v_fmac_f16_e32 v51, v42, v56
	v_fmac_f16_e32 v14, v55, v43
	v_sub_f16_e32 v42, v25, v15
	v_sub_f16_e32 v43, v27, v16
	v_add_f16_e32 v46, v34, v18
	v_add_f16_e32 v48, v22, v26
	v_fma_f16 v33, v33, 2.0, -v25
	v_fma_f16 v20, v20, 2.0, -v26
	;; [unrolled: 1-line block ×8, first 2 shown]
	v_fmamk_f16 v21, v43, 0x39a8, v42
	v_fmamk_f16 v32, v46, 0x39a8, v48
	v_sub_f16_e32 v20, v33, v20
	v_sub_f16_e32 v16, v23, v16
	v_sub_f16_e32 v15, v26, v15
	v_sub_f16_e32 v18, v24, v18
	v_fma_f16 v25, v25, 2.0, -v42
	v_fma_f16 v27, v27, 2.0, -v43
	;; [unrolled: 1-line block ×4, first 2 shown]
	v_fmac_f16_e32 v21, 0xb9a8, v46
	v_fmac_f16_e32 v32, 0x39a8, v43
	v_sub_f16_e32 v43, v20, v16
	v_add_f16_e32 v46, v15, v18
	v_fma_f16 v33, v33, 2.0, -v20
	v_fma_f16 v18, v24, 2.0, -v18
	;; [unrolled: 1-line block ×4, first 2 shown]
	v_fma_f16 v37, v55, v50, -v37
	v_fmamk_f16 v50, v27, 0xb9a8, v25
	v_fmamk_f16 v53, v34, 0xb9a8, v22
	v_sub_f16_e32 v18, v33, v18
	v_sub_f16_e32 v16, v24, v16
	v_mul_f16_e32 v26, v21, v52
	v_fmac_f16_e32 v50, 0xb9a8, v34
	v_fmac_f16_e32 v53, 0x39a8, v27
	v_mul_f16_e32 v23, v32, v52
	v_mul_f16_e32 v52, v46, v19
	;; [unrolled: 1-line block ×3, first 2 shown]
	v_fma_f16 v24, v24, 2.0, -v16
	v_fma_f16 v33, v33, 2.0, -v18
	;; [unrolled: 1-line block ×3, first 2 shown]
	v_fmac_f16_e32 v26, v32, v39
	v_mul_f16_e32 v32, v53, v17
	v_mul_f16_e32 v17, v50, v17
	v_fma_f16 v25, v25, 2.0, -v50
	v_fma_f16 v22, v22, 2.0, -v53
	;; [unrolled: 1-line block ×4, first 2 shown]
	v_fmac_f16_e32 v19, v46, v49
	v_mul_f16_e32 v46, v24, v14
	v_mul_f16_e32 v14, v33, v14
	v_fma_f16 v32, v50, v41, -v32
	v_fmac_f16_e32 v17, v53, v41
	v_mul_f16_e32 v41, v22, v51
	v_mul_f16_e32 v48, v25, v51
	v_fma_f16 v27, v42, 2.0, -v21
	v_fma_f16 v21, v21, v39, -v23
	v_fma_f16 v23, v43, v49, -v52
	v_mul_f16_e32 v43, v15, v35
	v_mul_f16_e32 v35, v20, v35
	v_fma_f16 v33, v33, v37, -v46
	v_fmac_f16_e32 v14, v24, v37
	v_mul_f16_e32 v39, v16, v38
	v_fma_f16 v25, v25, v36, -v41
	v_fmac_f16_e32 v48, v22, v36
	v_fma_f16 v20, v20, v12, -v43
	v_fmac_f16_e32 v35, v15, v12
	v_pack_b32_f16 v14, v14, v33
	v_mul_f16_e32 v38, v18, v38
	v_fma_f16 v12, v18, v57, -v39
	v_pack_b32_f16 v18, v48, v25
	v_pack_b32_f16 v20, v35, v20
	global_store_dword v[0:1], v14, off
	global_store_dword v[2:3], v18, off
	global_store_dword v[7:8], v20, off
	v_mad_u64_u32 v[6:7], null, s17, v11, v[6:7]
	v_lshlrev_b64 v[0:1], 2, v[28:29]
	v_mul_f16_e32 v42, v34, v40
	v_mul_f16_e32 v40, v27, v40
	v_lshlrev_b64 v[2:3], 2, v[30:31]
	v_lshlrev_b64 v[4:5], 2, v[4:5]
	v_fmac_f16_e32 v38, v16, v57
	v_mov_b32_e32 v14, v6
	v_add_co_u32 v0, vcc_lo, v44, v0
	v_fma_f16 v15, v27, v47, -v42
	v_fmac_f16_e32 v40, v34, v47
	v_add_co_ci_u32_e32 v1, vcc_lo, v45, v1, vcc_lo
	v_add_co_u32 v2, vcc_lo, v44, v2
	v_lshlrev_b64 v[6:7], 2, v[13:14]
	v_add_co_ci_u32_e32 v3, vcc_lo, v45, v3, vcc_lo
	v_add_co_u32 v4, vcc_lo, v44, v4
	v_pack_b32_f16 v8, v40, v15
	v_pack_b32_f16 v11, v38, v12
	v_add_co_ci_u32_e32 v5, vcc_lo, v45, v5, vcc_lo
	v_pack_b32_f16 v12, v17, v32
	v_add_co_u32 v6, vcc_lo, v44, v6
	v_pack_b32_f16 v13, v19, v23
	v_add_co_ci_u32_e32 v7, vcc_lo, v45, v7, vcc_lo
	v_pack_b32_f16 v14, v26, v21
	global_store_dword v[9:10], v8, off
	global_store_dword v[0:1], v11, off
	;; [unrolled: 1-line block ×5, first 2 shown]
.LBB0_21:
	s_endpgm
	.section	.rodata,"a",@progbits
	.p2align	6, 0x0
	.amdhsa_kernel fft_rtc_back_len128_factors_16_8_wgs_256_tpt_16_half_ip_CI_sbcc_twdbase5_3step_dirReg
		.amdhsa_group_segment_fixed_size 0
		.amdhsa_private_segment_fixed_size 0
		.amdhsa_kernarg_size 96
		.amdhsa_user_sgpr_count 6
		.amdhsa_user_sgpr_private_segment_buffer 1
		.amdhsa_user_sgpr_dispatch_ptr 0
		.amdhsa_user_sgpr_queue_ptr 0
		.amdhsa_user_sgpr_kernarg_segment_ptr 1
		.amdhsa_user_sgpr_dispatch_id 0
		.amdhsa_user_sgpr_flat_scratch_init 0
		.amdhsa_user_sgpr_private_segment_size 0
		.amdhsa_wavefront_size32 1
		.amdhsa_uses_dynamic_stack 0
		.amdhsa_system_sgpr_private_segment_wavefront_offset 0
		.amdhsa_system_sgpr_workgroup_id_x 1
		.amdhsa_system_sgpr_workgroup_id_y 0
		.amdhsa_system_sgpr_workgroup_id_z 0
		.amdhsa_system_sgpr_workgroup_info 0
		.amdhsa_system_vgpr_workitem_id 0
		.amdhsa_next_free_vgpr 64
		.amdhsa_next_free_sgpr 42
		.amdhsa_reserve_vcc 1
		.amdhsa_reserve_flat_scratch 0
		.amdhsa_float_round_mode_32 0
		.amdhsa_float_round_mode_16_64 0
		.amdhsa_float_denorm_mode_32 3
		.amdhsa_float_denorm_mode_16_64 3
		.amdhsa_dx10_clamp 1
		.amdhsa_ieee_mode 1
		.amdhsa_fp16_overflow 0
		.amdhsa_workgroup_processor_mode 1
		.amdhsa_memory_ordered 1
		.amdhsa_forward_progress 0
		.amdhsa_shared_vgpr_count 0
		.amdhsa_exception_fp_ieee_invalid_op 0
		.amdhsa_exception_fp_denorm_src 0
		.amdhsa_exception_fp_ieee_div_zero 0
		.amdhsa_exception_fp_ieee_overflow 0
		.amdhsa_exception_fp_ieee_underflow 0
		.amdhsa_exception_fp_ieee_inexact 0
		.amdhsa_exception_int_div_zero 0
	.end_amdhsa_kernel
	.text
.Lfunc_end0:
	.size	fft_rtc_back_len128_factors_16_8_wgs_256_tpt_16_half_ip_CI_sbcc_twdbase5_3step_dirReg, .Lfunc_end0-fft_rtc_back_len128_factors_16_8_wgs_256_tpt_16_half_ip_CI_sbcc_twdbase5_3step_dirReg
                                        ; -- End function
	.section	.AMDGPU.csdata,"",@progbits
; Kernel info:
; codeLenInByte = 7148
; NumSgprs: 44
; NumVgprs: 64
; ScratchSize: 0
; MemoryBound: 0
; FloatMode: 240
; IeeeMode: 1
; LDSByteSize: 0 bytes/workgroup (compile time only)
; SGPRBlocks: 5
; VGPRBlocks: 7
; NumSGPRsForWavesPerEU: 44
; NumVGPRsForWavesPerEU: 64
; Occupancy: 16
; WaveLimiterHint : 1
; COMPUTE_PGM_RSRC2:SCRATCH_EN: 0
; COMPUTE_PGM_RSRC2:USER_SGPR: 6
; COMPUTE_PGM_RSRC2:TRAP_HANDLER: 0
; COMPUTE_PGM_RSRC2:TGID_X_EN: 1
; COMPUTE_PGM_RSRC2:TGID_Y_EN: 0
; COMPUTE_PGM_RSRC2:TGID_Z_EN: 0
; COMPUTE_PGM_RSRC2:TIDIG_COMP_CNT: 0
	.text
	.p2alignl 6, 3214868480
	.fill 48, 4, 3214868480
	.type	__hip_cuid_45595c78c4df30e0,@object ; @__hip_cuid_45595c78c4df30e0
	.section	.bss,"aw",@nobits
	.globl	__hip_cuid_45595c78c4df30e0
__hip_cuid_45595c78c4df30e0:
	.byte	0                               ; 0x0
	.size	__hip_cuid_45595c78c4df30e0, 1

	.ident	"AMD clang version 19.0.0git (https://github.com/RadeonOpenCompute/llvm-project roc-6.4.0 25133 c7fe45cf4b819c5991fe208aaa96edf142730f1d)"
	.section	".note.GNU-stack","",@progbits
	.addrsig
	.addrsig_sym __hip_cuid_45595c78c4df30e0
	.amdgpu_metadata
---
amdhsa.kernels:
  - .args:
      - .actual_access:  read_only
        .address_space:  global
        .offset:         0
        .size:           8
        .value_kind:     global_buffer
      - .address_space:  global
        .offset:         8
        .size:           8
        .value_kind:     global_buffer
      - .offset:         16
        .size:           8
        .value_kind:     by_value
      - .actual_access:  read_only
        .address_space:  global
        .offset:         24
        .size:           8
        .value_kind:     global_buffer
      - .actual_access:  read_only
        .address_space:  global
        .offset:         32
        .size:           8
        .value_kind:     global_buffer
      - .offset:         40
        .size:           8
        .value_kind:     by_value
      - .actual_access:  read_only
        .address_space:  global
        .offset:         48
        .size:           8
        .value_kind:     global_buffer
      - .actual_access:  read_only
        .address_space:  global
        .offset:         56
        .size:           8
        .value_kind:     global_buffer
      - .offset:         64
        .size:           4
        .value_kind:     by_value
      - .actual_access:  read_only
        .address_space:  global
        .offset:         72
        .size:           8
        .value_kind:     global_buffer
      - .actual_access:  read_only
        .address_space:  global
        .offset:         80
        .size:           8
        .value_kind:     global_buffer
      - .address_space:  global
        .offset:         88
        .size:           8
        .value_kind:     global_buffer
    .group_segment_fixed_size: 0
    .kernarg_segment_align: 8
    .kernarg_segment_size: 96
    .language:       OpenCL C
    .language_version:
      - 2
      - 0
    .max_flat_workgroup_size: 256
    .name:           fft_rtc_back_len128_factors_16_8_wgs_256_tpt_16_half_ip_CI_sbcc_twdbase5_3step_dirReg
    .private_segment_fixed_size: 0
    .sgpr_count:     44
    .sgpr_spill_count: 0
    .symbol:         fft_rtc_back_len128_factors_16_8_wgs_256_tpt_16_half_ip_CI_sbcc_twdbase5_3step_dirReg.kd
    .uniform_work_group_size: 1
    .uses_dynamic_stack: false
    .vgpr_count:     64
    .vgpr_spill_count: 0
    .wavefront_size: 32
    .workgroup_processor_mode: 1
amdhsa.target:   amdgcn-amd-amdhsa--gfx1030
amdhsa.version:
  - 1
  - 2
...

	.end_amdgpu_metadata
